;; amdgpu-corpus repo=ROCm/rocFFT kind=compiled arch=gfx1030 opt=O3
	.text
	.amdgcn_target "amdgcn-amd-amdhsa--gfx1030"
	.amdhsa_code_object_version 6
	.protected	fft_rtc_back_len1078_factors_2_11_7_7_wgs_231_tpt_77_halfLds_dp_ip_CI_unitstride_sbrr_dirReg ; -- Begin function fft_rtc_back_len1078_factors_2_11_7_7_wgs_231_tpt_77_halfLds_dp_ip_CI_unitstride_sbrr_dirReg
	.globl	fft_rtc_back_len1078_factors_2_11_7_7_wgs_231_tpt_77_halfLds_dp_ip_CI_unitstride_sbrr_dirReg
	.p2align	8
	.type	fft_rtc_back_len1078_factors_2_11_7_7_wgs_231_tpt_77_halfLds_dp_ip_CI_unitstride_sbrr_dirReg,@function
fft_rtc_back_len1078_factors_2_11_7_7_wgs_231_tpt_77_halfLds_dp_ip_CI_unitstride_sbrr_dirReg: ; @fft_rtc_back_len1078_factors_2_11_7_7_wgs_231_tpt_77_halfLds_dp_ip_CI_unitstride_sbrr_dirReg
; %bb.0:
	s_load_dwordx4 s[8:11], s[4:5], 0x0
	v_mul_u32_u24_e32 v1, 0x354, v0
	s_clause 0x1
	s_load_dwordx2 s[2:3], s[4:5], 0x50
	s_load_dwordx2 s[12:13], s[4:5], 0x18
	v_mov_b32_e32 v3, 0
	v_mov_b32_e32 v5, 0
	;; [unrolled: 1-line block ×3, first 2 shown]
	v_lshrrev_b32_e32 v1, 16, v1
	v_mad_u64_u32 v[1:2], null, s6, 3, v[1:2]
	v_mov_b32_e32 v2, v3
	v_mov_b32_e32 v10, v2
	;; [unrolled: 1-line block ×3, first 2 shown]
	s_waitcnt lgkmcnt(0)
	v_cmp_lt_u64_e64 s0, s[10:11], 2
	s_and_b32 vcc_lo, exec_lo, s0
	s_cbranch_vccnz .LBB0_8
; %bb.1:
	s_load_dwordx2 s[0:1], s[4:5], 0x10
	v_mov_b32_e32 v5, 0
	v_mov_b32_e32 v8, v2
	s_add_u32 s6, s12, 8
	v_mov_b32_e32 v6, 0
	v_mov_b32_e32 v7, v1
	s_addc_u32 s7, s13, 0
	s_mov_b64 s[16:17], 1
	s_waitcnt lgkmcnt(0)
	s_add_u32 s14, s0, 8
	s_addc_u32 s15, s1, 0
.LBB0_2:                                ; =>This Inner Loop Header: Depth=1
	s_load_dwordx2 s[18:19], s[14:15], 0x0
                                        ; implicit-def: $vgpr9_vgpr10
	s_mov_b32 s0, exec_lo
	s_waitcnt lgkmcnt(0)
	v_or_b32_e32 v4, s19, v8
	v_cmpx_ne_u64_e32 0, v[3:4]
	s_xor_b32 s1, exec_lo, s0
	s_cbranch_execz .LBB0_4
; %bb.3:                                ;   in Loop: Header=BB0_2 Depth=1
	v_cvt_f32_u32_e32 v2, s18
	v_cvt_f32_u32_e32 v4, s19
	s_sub_u32 s0, 0, s18
	s_subb_u32 s20, 0, s19
	v_fmac_f32_e32 v2, 0x4f800000, v4
	v_rcp_f32_e32 v2, v2
	v_mul_f32_e32 v2, 0x5f7ffffc, v2
	v_mul_f32_e32 v4, 0x2f800000, v2
	v_trunc_f32_e32 v4, v4
	v_fmac_f32_e32 v2, 0xcf800000, v4
	v_cvt_u32_f32_e32 v4, v4
	v_cvt_u32_f32_e32 v2, v2
	v_mul_lo_u32 v9, s0, v4
	v_mul_hi_u32 v10, s0, v2
	v_mul_lo_u32 v11, s20, v2
	v_add_nc_u32_e32 v9, v10, v9
	v_mul_lo_u32 v10, s0, v2
	v_add_nc_u32_e32 v9, v9, v11
	v_mul_hi_u32 v11, v2, v10
	v_mul_lo_u32 v12, v2, v9
	v_mul_hi_u32 v13, v2, v9
	v_mul_hi_u32 v14, v4, v10
	v_mul_lo_u32 v10, v4, v10
	v_mul_hi_u32 v15, v4, v9
	v_mul_lo_u32 v9, v4, v9
	v_add_co_u32 v11, vcc_lo, v11, v12
	v_add_co_ci_u32_e32 v12, vcc_lo, 0, v13, vcc_lo
	v_add_co_u32 v10, vcc_lo, v11, v10
	v_add_co_ci_u32_e32 v10, vcc_lo, v12, v14, vcc_lo
	v_add_co_ci_u32_e32 v11, vcc_lo, 0, v15, vcc_lo
	v_add_co_u32 v9, vcc_lo, v10, v9
	v_add_co_ci_u32_e32 v10, vcc_lo, 0, v11, vcc_lo
	v_add_co_u32 v2, vcc_lo, v2, v9
	v_add_co_ci_u32_e32 v4, vcc_lo, v4, v10, vcc_lo
	v_mul_hi_u32 v9, s0, v2
	v_mul_lo_u32 v11, s20, v2
	v_mul_lo_u32 v10, s0, v4
	v_add_nc_u32_e32 v9, v9, v10
	v_mul_lo_u32 v10, s0, v2
	v_add_nc_u32_e32 v9, v9, v11
	v_mul_hi_u32 v11, v2, v10
	v_mul_lo_u32 v12, v2, v9
	v_mul_hi_u32 v13, v2, v9
	v_mul_hi_u32 v14, v4, v10
	v_mul_lo_u32 v10, v4, v10
	v_mul_hi_u32 v15, v4, v9
	v_mul_lo_u32 v9, v4, v9
	v_add_co_u32 v11, vcc_lo, v11, v12
	v_add_co_ci_u32_e32 v12, vcc_lo, 0, v13, vcc_lo
	v_add_co_u32 v10, vcc_lo, v11, v10
	v_add_co_ci_u32_e32 v10, vcc_lo, v12, v14, vcc_lo
	v_add_co_ci_u32_e32 v11, vcc_lo, 0, v15, vcc_lo
	v_add_co_u32 v9, vcc_lo, v10, v9
	v_add_co_ci_u32_e32 v10, vcc_lo, 0, v11, vcc_lo
	v_add_co_u32 v2, vcc_lo, v2, v9
	v_add_co_ci_u32_e32 v4, vcc_lo, v4, v10, vcc_lo
	v_mul_hi_u32 v15, v7, v2
	v_mad_u64_u32 v[11:12], null, v8, v2, 0
	v_mad_u64_u32 v[9:10], null, v7, v4, 0
	v_mad_u64_u32 v[13:14], null, v8, v4, 0
	v_add_co_u32 v2, vcc_lo, v15, v9
	v_add_co_ci_u32_e32 v4, vcc_lo, 0, v10, vcc_lo
	v_add_co_u32 v2, vcc_lo, v2, v11
	v_add_co_ci_u32_e32 v2, vcc_lo, v4, v12, vcc_lo
	v_add_co_ci_u32_e32 v4, vcc_lo, 0, v14, vcc_lo
	v_add_co_u32 v2, vcc_lo, v2, v13
	v_add_co_ci_u32_e32 v4, vcc_lo, 0, v4, vcc_lo
	v_mul_lo_u32 v11, s19, v2
	v_mad_u64_u32 v[9:10], null, s18, v2, 0
	v_mul_lo_u32 v12, s18, v4
	v_sub_co_u32 v9, vcc_lo, v7, v9
	v_add3_u32 v10, v10, v12, v11
	v_sub_nc_u32_e32 v11, v8, v10
	v_subrev_co_ci_u32_e64 v11, s0, s19, v11, vcc_lo
	v_add_co_u32 v12, s0, v2, 2
	v_add_co_ci_u32_e64 v13, s0, 0, v4, s0
	v_sub_co_u32 v14, s0, v9, s18
	v_sub_co_ci_u32_e32 v10, vcc_lo, v8, v10, vcc_lo
	v_subrev_co_ci_u32_e64 v11, s0, 0, v11, s0
	v_cmp_le_u32_e32 vcc_lo, s18, v14
	v_cmp_eq_u32_e64 s0, s19, v10
	v_cndmask_b32_e64 v14, 0, -1, vcc_lo
	v_cmp_le_u32_e32 vcc_lo, s19, v11
	v_cndmask_b32_e64 v15, 0, -1, vcc_lo
	v_cmp_le_u32_e32 vcc_lo, s18, v9
	;; [unrolled: 2-line block ×3, first 2 shown]
	v_cndmask_b32_e64 v16, 0, -1, vcc_lo
	v_cmp_eq_u32_e32 vcc_lo, s19, v11
	v_cndmask_b32_e64 v9, v16, v9, s0
	v_cndmask_b32_e32 v11, v15, v14, vcc_lo
	v_add_co_u32 v14, vcc_lo, v2, 1
	v_add_co_ci_u32_e32 v15, vcc_lo, 0, v4, vcc_lo
	v_cmp_ne_u32_e32 vcc_lo, 0, v11
	v_cndmask_b32_e32 v10, v15, v13, vcc_lo
	v_cndmask_b32_e32 v11, v14, v12, vcc_lo
	v_cmp_ne_u32_e32 vcc_lo, 0, v9
	v_cndmask_b32_e32 v10, v4, v10, vcc_lo
	v_cndmask_b32_e32 v9, v2, v11, vcc_lo
.LBB0_4:                                ;   in Loop: Header=BB0_2 Depth=1
	s_andn2_saveexec_b32 s0, s1
	s_cbranch_execz .LBB0_6
; %bb.5:                                ;   in Loop: Header=BB0_2 Depth=1
	v_cvt_f32_u32_e32 v2, s18
	s_sub_i32 s1, 0, s18
	v_rcp_iflag_f32_e32 v2, v2
	v_mul_f32_e32 v2, 0x4f7ffffe, v2
	v_cvt_u32_f32_e32 v2, v2
	v_mul_lo_u32 v4, s1, v2
	v_mul_hi_u32 v4, v2, v4
	v_add_nc_u32_e32 v2, v2, v4
	v_mul_hi_u32 v2, v7, v2
	v_mul_lo_u32 v4, v2, s18
	v_add_nc_u32_e32 v9, 1, v2
	v_sub_nc_u32_e32 v4, v7, v4
	v_subrev_nc_u32_e32 v10, s18, v4
	v_cmp_le_u32_e32 vcc_lo, s18, v4
	v_cndmask_b32_e32 v4, v4, v10, vcc_lo
	v_cndmask_b32_e32 v2, v2, v9, vcc_lo
	v_mov_b32_e32 v10, v3
	v_cmp_le_u32_e32 vcc_lo, s18, v4
	v_add_nc_u32_e32 v9, 1, v2
	v_cndmask_b32_e32 v9, v2, v9, vcc_lo
.LBB0_6:                                ;   in Loop: Header=BB0_2 Depth=1
	s_or_b32 exec_lo, exec_lo, s0
	s_load_dwordx2 s[0:1], s[6:7], 0x0
	v_mul_lo_u32 v2, v10, s18
	v_mul_lo_u32 v4, v9, s19
	v_mad_u64_u32 v[11:12], null, v9, s18, 0
	s_add_u32 s16, s16, 1
	s_addc_u32 s17, s17, 0
	s_add_u32 s6, s6, 8
	s_addc_u32 s7, s7, 0
	;; [unrolled: 2-line block ×3, first 2 shown]
	v_add3_u32 v2, v12, v4, v2
	v_sub_co_u32 v4, vcc_lo, v7, v11
	v_sub_co_ci_u32_e32 v2, vcc_lo, v8, v2, vcc_lo
	s_waitcnt lgkmcnt(0)
	v_mul_lo_u32 v7, s1, v4
	v_mul_lo_u32 v2, s0, v2
	v_mad_u64_u32 v[5:6], null, s0, v4, v[5:6]
	v_cmp_ge_u64_e64 s0, s[16:17], s[10:11]
	s_and_b32 vcc_lo, exec_lo, s0
	v_add3_u32 v6, v7, v6, v2
	s_cbranch_vccnz .LBB0_8
; %bb.7:                                ;   in Loop: Header=BB0_2 Depth=1
	v_mov_b32_e32 v7, v9
	v_mov_b32_e32 v8, v10
	s_branch .LBB0_2
.LBB0_8:
	s_lshl_b64 s[0:1], s[10:11], 3
                                        ; implicit-def: $vgpr98_vgpr99
                                        ; implicit-def: $vgpr86_vgpr87
                                        ; implicit-def: $vgpr94_vgpr95
                                        ; implicit-def: $vgpr78_vgpr79
                                        ; implicit-def: $vgpr90_vgpr91
                                        ; implicit-def: $vgpr82_vgpr83
                                        ; implicit-def: $vgpr62_vgpr63
                                        ; implicit-def: $vgpr26_vgpr27
                                        ; implicit-def: $vgpr66_vgpr67
                                        ; implicit-def: $vgpr58_vgpr59
                                        ; implicit-def: $vgpr70_vgpr71
                                        ; implicit-def: $vgpr22_vgpr23
                                        ; implicit-def: $vgpr74_vgpr75
                                        ; implicit-def: $vgpr18_vgpr19
	s_add_u32 s0, s12, s0
	s_addc_u32 s1, s13, s1
	s_load_dwordx2 s[0:1], s[0:1], 0x0
	s_load_dwordx2 s[4:5], s[4:5], 0x20
	s_waitcnt lgkmcnt(0)
	v_mul_lo_u32 v4, s0, v10
	v_mul_lo_u32 v7, s1, v9
	v_mad_u64_u32 v[2:3], null, s0, v9, v[5:6]
	v_mul_hi_u32 v5, 0x3531ded, v0
	v_cmp_gt_u64_e32 vcc_lo, s[4:5], v[9:10]
	v_add3_u32 v3, v7, v3, v4
	v_mul_u32_u24_e32 v4, 0x4d, v5
	v_lshlrev_b64 v[102:103], 4, v[2:3]
	v_sub_nc_u32_e32 v100, v0, v4
	s_and_saveexec_b32 s1, vcc_lo
	s_cbranch_execz .LBB0_10
; %bb.9:
	v_mov_b32_e32 v101, 0
	v_add_co_u32 v0, s0, s2, v102
	v_add_co_ci_u32_e64 v4, s0, s3, v103, s0
	v_lshlrev_b64 v[2:3], 4, v[100:101]
	v_add_co_u32 v2, s0, v0, v2
	v_add_co_ci_u32_e64 v3, s0, v4, v3, s0
	s_clause 0x1
	global_load_dwordx4 v[16:19], v[2:3], off
	global_load_dwordx4 v[20:23], v[2:3], off offset:1232
	v_add_co_u32 v4, s0, 0x2000, v2
	v_add_co_ci_u32_e64 v5, s0, 0, v3, s0
	v_add_co_u32 v6, s0, 0x800, v2
	v_add_co_ci_u32_e64 v7, s0, 0, v3, s0
	;; [unrolled: 2-line block ×4, first 2 shown]
	s_clause 0x5
	global_load_dwordx4 v[72:75], v[4:5], off offset:432
	global_load_dwordx4 v[68:71], v[4:5], off offset:1664
	global_load_dwordx4 v[56:59], v[6:7], off offset:416
	global_load_dwordx4 v[24:27], v[6:7], off offset:1648
	global_load_dwordx4 v[64:67], v[8:9], off offset:848
	global_load_dwordx4 v[60:63], v[10:11], off offset:32
	v_add_co_u32 v4, s0, 0x1000, v2
	v_add_co_ci_u32_e64 v5, s0, 0, v3, s0
	v_add_co_u32 v6, s0, 0x1800, v2
	v_add_co_ci_u32_e64 v7, s0, 0, v3, s0
	;; [unrolled: 2-line block ×3, first 2 shown]
	s_clause 0x5
	global_load_dwordx4 v[80:83], v[4:5], off offset:832
	global_load_dwordx4 v[88:91], v[10:11], off offset:1264
	;; [unrolled: 1-line block ×6, first 2 shown]
.LBB0_10:
	s_or_b32 exec_lo, exec_lo, s1
	s_waitcnt vmcnt(11)
	v_add_f64 v[8:9], v[16:17], -v[72:73]
	v_mul_hi_u32 v0, 0xaaaaaaab, v1
	s_waitcnt vmcnt(10)
	v_add_f64 v[12:13], v[20:21], -v[68:69]
	s_waitcnt vmcnt(7)
	v_add_f64 v[36:37], v[56:57], -v[64:65]
	;; [unrolled: 2-line block ×6, first 2 shown]
	v_add_nc_u32_e32 v112, 0x4d, v100
	v_lshrrev_b32_e32 v0, 1, v0
	v_cmp_gt_u32_e64 s0, 21, v100
                                        ; implicit-def: $vgpr92_vgpr93
	v_lshl_add_u32 v0, v0, 1, v0
	v_sub_nc_u32_e32 v0, v1, v0
	v_fma_f64 v[6:7], v[16:17], 2.0, -v[8:9]
                                        ; implicit-def: $vgpr16_vgpr17
	v_fma_f64 v[10:11], v[20:21], 2.0, -v[12:13]
	v_mul_u32_u24_e32 v0, 0x436, v0
	v_fma_f64 v[34:35], v[56:57], 2.0, -v[36:37]
	v_fma_f64 v[38:39], v[24:25], 2.0, -v[40:41]
	;; [unrolled: 1-line block ×5, first 2 shown]
	v_lshlrev_b32_e32 v101, 3, v0
	v_lshlrev_b32_e32 v0, 3, v100
	v_add_nc_u32_e32 v1, 0, v101
	v_add3_u32 v114, 0, v0, v101
	v_lshl_add_u32 v28, v100, 4, v1
	v_add_nc_u32_e32 v113, v1, v0
	v_lshl_add_u32 v29, v112, 4, v1
	v_add_nc_u32_e32 v20, 0x800, v114
	v_add_nc_u32_e32 v21, 0xc00, v114
	v_add_nc_u32_e32 v24, 0x1400, v114
	v_add_nc_u32_e32 v25, 0x1800, v114
	ds_write_b128 v28, v[6:9]
	ds_write_b128 v29, v[10:13]
	ds_write_b128 v28, v[34:37] offset:2464
	ds_write_b128 v28, v[38:41] offset:3696
	;; [unrolled: 1-line block ×5, first 2 shown]
	s_waitcnt lgkmcnt(0)
	s_barrier
	buffer_gl0_inv
	ds_read_b64 v[96:97], v113
	ds_read2_b64 v[54:57], v114 offset0:98 offset1:196
	ds_read2_b64 v[46:49], v20 offset0:38 offset1:136
	;; [unrolled: 1-line block ×5, first 2 shown]
	v_add_nc_u32_e32 v68, 0x9a0, v28
	v_add_nc_u32_e32 v65, 0x1340, v28
	;; [unrolled: 1-line block ×3, first 2 shown]
                                        ; implicit-def: $vgpr8_vgpr9
                                        ; implicit-def: $vgpr12_vgpr13
                                        ; implicit-def: $vgpr44_vgpr45
	s_and_saveexec_b32 s1, s0
	s_cbranch_execz .LBB0_12
; %bb.11:
	ds_read2_b64 v[42:45], v20 offset0:17 offset1:115
	ds_read2_b64 v[0:3], v114 offset0:77 offset1:175
	v_add_nc_u32_e32 v4, 0x1000, v114
	ds_read2_b64 v[10:13], v21 offset0:85 offset1:183
	ds_read2_b64 v[6:9], v25 offset0:93 offset1:191
	ds_read_b64 v[92:93], v114 offset:8456
	ds_read2_b64 v[14:17], v4 offset0:153 offset1:251
	s_waitcnt lgkmcnt(5)
	v_mov_b32_e32 v32, v42
	s_waitcnt lgkmcnt(4)
	v_mov_b32_e32 v31, v3
	v_mov_b32_e32 v5, v1
	;; [unrolled: 1-line block ×5, first 2 shown]
.LBB0_12:
	s_or_b32 exec_lo, exec_lo, s1
	v_add_f64 v[72:73], v[18:19], -v[74:75]
	v_add_f64 v[76:77], v[22:23], -v[70:71]
	;; [unrolled: 1-line block ×7, first 2 shown]
	s_waitcnt lgkmcnt(0)
	s_barrier
	buffer_gl0_inv
                                        ; implicit-def: $vgpr42_vgpr43
	v_fma_f64 v[70:71], v[18:19], 2.0, -v[72:73]
	v_fma_f64 v[74:75], v[22:23], 2.0, -v[76:77]
	;; [unrolled: 1-line block ×7, first 2 shown]
	ds_write_b128 v28, v[70:73]
	ds_write_b128 v29, v[74:77]
	;; [unrolled: 1-line block ×3, first 2 shown]
	ds_write_b128 v28, v[108:111] offset:3696
	ds_write_b128 v65, v[82:85]
	ds_write_b128 v28, v[0:3] offset:6160
	ds_write_b128 v64, v[58:61]
	s_waitcnt lgkmcnt(0)
	s_barrier
	buffer_gl0_inv
	ds_read_b64 v[0:1], v113
	ds_read2_b64 v[78:81], v114 offset0:98 offset1:196
	ds_read2_b64 v[70:73], v20 offset0:38 offset1:136
	;; [unrolled: 1-line block ×5, first 2 shown]
                                        ; implicit-def: $vgpr20_vgpr21
                                        ; implicit-def: $vgpr24_vgpr25
                                        ; implicit-def: $vgpr28_vgpr29
                                        ; implicit-def: $vgpr68_vgpr69
	s_and_saveexec_b32 s1, s0
	s_cbranch_execz .LBB0_14
; %bb.13:
	v_add_nc_u32_e32 v2, 0x800, v114
	ds_read2_b64 v[86:89], v114 offset0:77 offset1:175
	v_add_nc_u32_e32 v3, 0xc00, v114
	v_add_nc_u32_e32 v18, 0x1000, v114
	ds_read2_b64 v[66:69], v2 offset0:17 offset1:115
	v_add_nc_u32_e32 v2, 0x1800, v114
	ds_read_b64 v[42:43], v114 offset:8456
	ds_read2_b64 v[26:29], v3 offset0:85 offset1:183
	ds_read2_b64 v[22:25], v18 offset0:153 offset1:251
	;; [unrolled: 1-line block ×3, first 2 shown]
	s_waitcnt lgkmcnt(5)
	v_mov_b32_e32 v58, v88
	v_mov_b32_e32 v2, v86
	;; [unrolled: 1-line block ×4, first 2 shown]
	s_waitcnt lgkmcnt(4)
	v_mov_b32_e32 v60, v66
	v_mov_b32_e32 v61, v67
.LBB0_14:
	s_or_b32 exec_lo, exec_lo, s1
	v_and_b32_e32 v116, 1, v100
	v_and_b32_e32 v115, 1, v112
	s_mov_b32 s4, 0xf8bb580b
	s_mov_b32 s6, 0x8eee2c13
	;; [unrolled: 1-line block ×3, first 2 shown]
	v_mul_u32_u24_e32 v66, 10, v116
	v_mul_u32_u24_e32 v67, 10, v115
	s_mov_b32 s7, 0xbfed1bb4
	s_mov_b32 s10, 0x43842ef
	;; [unrolled: 1-line block ×3, first 2 shown]
	v_lshlrev_b32_e32 v66, 4, v66
	v_lshlrev_b32_e32 v94, 4, v67
	s_mov_b32 s14, 0xfd768dbf
	s_mov_b32 s28, 0x8764f0ba
	;; [unrolled: 1-line block ×3, first 2 shown]
	s_clause 0xd
	global_load_dwordx4 v[86:89], v66, s[8:9]
	global_load_dwordx4 v[104:107], v66, s[8:9] offset:144
	global_load_dwordx4 v[117:120], v66, s[8:9] offset:16
	;; [unrolled: 1-line block ×9, first 2 shown]
	global_load_dwordx4 v[149:152], v94, s[8:9]
	global_load_dwordx4 v[153:156], v94, s[8:9] offset:16
	global_load_dwordx4 v[157:160], v94, s[8:9] offset:32
	;; [unrolled: 1-line block ×3, first 2 shown]
	s_mov_b32 s11, 0xbfefac9e
	s_mov_b32 s13, 0xbfe82f19
	;; [unrolled: 1-line block ×19, first 2 shown]
	s_waitcnt vmcnt(13)
	v_mul_f64 v[66:67], v[54:55], v[88:89]
	s_waitcnt vmcnt(12)
	v_mul_f64 v[90:91], v[52:53], v[106:107]
	s_waitcnt lgkmcnt(4)
	v_mul_f64 v[88:89], v[78:79], v[88:89]
	s_waitcnt vmcnt(11)
	v_mul_f64 v[98:99], v[56:57], v[119:120]
	v_mul_f64 v[110:111], v[80:81], v[119:120]
	s_waitcnt vmcnt(10)
	v_mul_f64 v[119:120], v[50:51], v[123:124]
	s_waitcnt vmcnt(9) lgkmcnt(3)
	v_mul_f64 v[165:166], v[70:71], v[127:128]
	v_mul_f64 v[127:128], v[46:47], v[127:128]
	s_waitcnt lgkmcnt(0)
	v_mul_f64 v[177:178], v[84:85], v[106:107]
	s_waitcnt vmcnt(8)
	v_mul_f64 v[167:168], v[72:73], v[131:132]
	v_mul_f64 v[131:132], v[48:49], v[131:132]
	s_waitcnt vmcnt(7)
	v_mul_f64 v[169:170], v[40:41], v[135:136]
	s_waitcnt vmcnt(6)
	;; [unrolled: 2-line block ×3, first 2 shown]
	v_mul_f64 v[175:176], v[38:39], v[147:148]
	v_mul_f64 v[135:136], v[76:77], v[135:136]
	;; [unrolled: 1-line block ×4, first 2 shown]
	s_waitcnt vmcnt(2)
	v_mul_f64 v[181:182], v[60:61], v[155:156]
	v_mul_f64 v[155:156], v[32:33], v[155:156]
	;; [unrolled: 1-line block ×5, first 2 shown]
	v_fma_f64 v[108:109], v[78:79], v[86:87], -v[66:67]
	v_fma_f64 v[66:67], v[84:85], v[104:105], -v[90:91]
	v_fma_f64 v[86:87], v[54:55], v[86:87], v[88:89]
	v_fma_f64 v[106:107], v[80:81], v[117:118], -v[98:99]
	v_fma_f64 v[88:89], v[56:57], v[117:118], v[110:111]
	v_fma_f64 v[54:55], v[82:83], v[121:122], -v[119:120]
	s_waitcnt vmcnt(1)
	v_mul_f64 v[110:111], v[44:45], v[159:160]
	v_fma_f64 v[90:91], v[70:71], v[125:126], -v[127:128]
	s_waitcnt vmcnt(0)
	v_mul_f64 v[127:128], v[26:27], v[163:164]
	v_fma_f64 v[104:105], v[52:53], v[104:105], v[177:178]
	v_mul_f64 v[151:152], v[30:31], v[151:152]
	v_mul_f64 v[183:184], v[68:69], v[159:160]
	v_fma_f64 v[56:57], v[76:77], v[133:134], -v[169:170]
	v_mul_f64 v[159:160], v[10:11], v[163:164]
	v_fma_f64 v[72:73], v[72:73], v[129:130], -v[131:132]
	v_fma_f64 v[70:71], v[74:75], v[145:146], -v[175:176]
	v_fma_f64 v[78:79], v[46:47], v[125:126], v[165:166]
	v_fma_f64 v[98:99], v[50:51], v[121:122], v[123:124]
	;; [unrolled: 1-line block ×6, first 2 shown]
	v_fma_f64 v[38:39], v[60:61], v[153:154], -v[155:156]
	v_add_f64 v[52:53], v[108:109], -v[66:67]
	v_mul_f64 v[143:144], v[36:37], v[143:144]
	v_fma_f64 v[80:81], v[48:49], v[129:130], v[167:168]
	v_fma_f64 v[76:77], v[36:37], v[141:142], v[173:174]
	v_add_f64 v[125:126], v[106:107], -v[54:55]
	v_fma_f64 v[32:33], v[68:69], v[157:158], -v[110:111]
	v_fma_f64 v[46:47], v[30:31], v[149:150], v[179:180]
	v_fma_f64 v[40:41], v[10:11], v[161:162], v[127:128]
	v_add_f64 v[10:11], v[86:87], v[104:105]
	v_fma_f64 v[48:49], v[58:59], v[149:150], -v[151:152]
	v_fma_f64 v[30:31], v[44:45], v[157:158], v[183:184]
	v_add_f64 v[58:59], v[90:91], -v[56:57]
	v_fma_f64 v[36:37], v[26:27], v[161:162], -v[159:160]
	v_fma_f64 v[62:63], v[62:63], v[137:138], -v[139:140]
	v_add_f64 v[44:45], v[72:73], -v[70:71]
	s_clause 0x1
	global_load_dwordx4 v[117:120], v94, s[8:9] offset:64
	global_load_dwordx4 v[121:124], v94, s[8:9] offset:80
	v_add_f64 v[26:27], v[88:89], v[98:99]
	v_mul_f64 v[60:61], v[52:53], s[4:5]
	v_mul_f64 v[68:69], v[52:53], s[6:7]
	;; [unrolled: 1-line block ×7, first 2 shown]
	v_fma_f64 v[50:51], v[64:65], v[141:142], -v[143:144]
	v_add_f64 v[64:65], v[78:79], v[84:85]
	v_add_f64 v[110:111], v[80:81], v[82:83]
	v_mul_f64 v[135:136], v[125:126], s[18:19]
	v_mul_f64 v[137:138], v[125:126], s[20:21]
	;; [unrolled: 1-line block ×12, first 2 shown]
	v_fma_f64 v[155:156], v[10:11], s[28:29], v[60:61]
	v_fma_f64 v[157:158], v[10:11], s[22:23], v[68:69]
	v_mul_f64 v[44:45], v[44:45], s[30:31]
	v_fma_f64 v[60:61], v[10:11], s[28:29], -v[60:61]
	v_fma_f64 v[68:69], v[10:11], s[22:23], -v[68:69]
	v_fma_f64 v[159:160], v[10:11], s[16:17], v[127:128]
	v_fma_f64 v[161:162], v[10:11], s[16:17], -v[127:128]
	v_fma_f64 v[163:164], v[10:11], s[26:27], v[129:130]
	;; [unrolled: 2-line block ×4, first 2 shown]
	v_fma_f64 v[171:172], v[26:27], s[26:27], v[133:134]
	v_fma_f64 v[173:174], v[26:27], s[26:27], -v[133:134]
	v_fma_f64 v[169:170], v[26:27], s[22:23], -v[131:132]
	v_fma_f64 v[175:176], v[26:27], s[34:35], v[135:136]
	v_fma_f64 v[177:178], v[26:27], s[34:35], -v[135:136]
	v_fma_f64 v[179:180], v[26:27], s[16:17], v[137:138]
	v_fma_f64 v[181:182], v[26:27], s[16:17], -v[137:138]
	v_fma_f64 v[183:184], v[26:27], s[28:29], v[125:126]
	v_fma_f64 v[26:27], v[26:27], s[28:29], -v[125:126]
	v_fma_f64 v[185:186], v[64:65], s[16:17], v[139:140]
	v_add_f64 v[129:130], v[96:97], v[155:156]
	v_add_f64 v[133:134], v[96:97], v[157:158]
	v_fma_f64 v[187:188], v[64:65], s[16:17], -v[139:140]
	v_fma_f64 v[189:190], v[64:65], s[34:35], v[141:142]
	v_fma_f64 v[141:142], v[64:65], s[34:35], -v[141:142]
	v_fma_f64 v[155:156], v[64:65], s[22:23], v[143:144]
	;; [unrolled: 2-line block ×8, first 2 shown]
	global_load_dwordx4 v[125:128], v94, s[8:9] offset:96
	v_fma_f64 v[153:154], v[110:111], s[34:35], -v[153:154]
	v_fma_f64 v[199:200], v[110:111], s[22:23], v[44:45]
	v_fma_f64 v[44:45], v[110:111], s[22:23], -v[44:45]
	v_add_f64 v[52:53], v[52:53], v[129:130]
	global_load_dwordx4 v[129:132], v94, s[8:9] offset:112
	v_add_f64 v[110:111], v[171:172], v[133:134]
	s_clause 0x1
	global_load_dwordx4 v[133:136], v94, s[8:9] offset:128
	global_load_dwordx4 v[137:140], v94, s[8:9] offset:144
	v_add_f64 v[60:61], v[96:97], v[60:61]
	v_add_f64 v[68:69], v[96:97], v[68:69]
	;; [unrolled: 1-line block ×9, first 2 shown]
	v_add_f64 v[167:168], v[62:63], -v[50:51]
	s_waitcnt vmcnt(0)
	s_barrier
	buffer_gl0_inv
	v_add_f64 v[52:53], v[185:186], v[52:53]
	v_lshrrev_b32_e32 v185, 1, v100
	v_add_f64 v[110:111], v[189:190], v[110:111]
	v_add_f64 v[60:61], v[169:170], v[60:61]
	;; [unrolled: 1-line block ×11, first 2 shown]
	v_mul_f64 v[171:172], v[167:168], s[14:15]
	v_mul_f64 v[173:174], v[167:168], s[24:25]
	;; [unrolled: 1-line block ×5, first 2 shown]
	v_mul_u32_u24_e32 v185, 22, v185
	v_add_f64 v[181:182], v[64:65], v[52:53]
	v_or_b32_e32 v116, v185, v116
	v_add_f64 v[60:61], v[187:188], v[60:61]
	v_add_f64 v[68:69], v[141:142], v[68:69]
	;; [unrolled: 1-line block ×9, first 2 shown]
	v_lshlrev_b32_e32 v116, 3, v116
	v_fma_f64 v[177:178], v[169:170], s[34:35], v[171:172]
	v_fma_f64 v[171:172], v[169:170], s[34:35], -v[171:172]
	v_fma_f64 v[141:142], v[169:170], s[28:29], v[173:174]
	v_fma_f64 v[173:174], v[169:170], s[28:29], -v[173:174]
	;; [unrolled: 2-line block ×5, first 2 shown]
	v_add_f64 v[147:148], v[147:148], v[60:61]
	v_add_f64 v[149:150], v[149:150], v[68:69]
	;; [unrolled: 1-line block ×14, first 2 shown]
	v_mul_f64 v[169:170], v[28:29], v[119:120]
	v_mul_f64 v[119:120], v[12:13], v[119:120]
	;; [unrolled: 1-line block ×4, first 2 shown]
	v_fma_f64 v[64:65], v[12:13], v[117:118], v[169:170]
	v_fma_f64 v[60:61], v[28:29], v[117:118], -v[119:120]
	v_fma_f64 v[68:69], v[14:15], v[121:122], v[159:160]
	v_fma_f64 v[58:59], v[22:23], v[121:122], -v[123:124]
	v_add_f64 v[12:13], v[173:174], v[149:150]
	v_add_f64 v[22:23], v[175:176], v[143:144]
	v_add3_u32 v117, 0, v116, v101
	v_lshrrev_b32_e32 v116, 1, v112
	v_mul_f64 v[179:180], v[24:25], v[127:128]
	v_mul_f64 v[52:53], v[16:17], v[127:128]
	v_add_f64 v[127:128], v[193:194], v[110:111]
	v_mul_f64 v[96:97], v[18:19], v[131:132]
	v_mul_f64 v[110:111], v[6:7], v[131:132]
	v_add_f64 v[131:132], v[195:196], v[94:95]
	v_mul_f64 v[183:184], v[20:21], v[135:136]
	v_mul_f64 v[135:136], v[8:9], v[135:136]
	;; [unrolled: 1-line block ×4, first 2 shown]
	v_fma_f64 v[94:95], v[16:17], v[125:126], v[179:180]
	v_fma_f64 v[52:53], v[24:25], v[125:126], -v[52:53]
	v_add_f64 v[16:17], v[161:162], v[157:158]
	v_add_f64 v[24:25], v[151:152], v[104:105]
	v_fma_f64 v[96:97], v[6:7], v[129:130], v[96:97]
	v_fma_f64 v[44:45], v[18:19], v[129:130], -v[110:111]
	v_add_f64 v[14:15], v[155:156], v[131:132]
	v_fma_f64 v[110:111], v[8:9], v[133:134], v[183:184]
	v_fma_f64 v[28:29], v[20:21], v[133:134], -v[135:136]
	v_fma_f64 v[92:93], v[92:93], v[137:138], v[153:154]
	v_add_f64 v[8:9], v[141:142], v[127:128]
	v_fma_f64 v[42:43], v[42:43], v[137:138], -v[139:140]
	v_add_f64 v[20:21], v[163:164], v[165:166]
	v_add_f64 v[18:19], v[26:27], v[145:146]
	;; [unrolled: 1-line block ×4, first 2 shown]
	ds_write2_b64 v117, v[8:9], v[14:15] offset0:4 offset1:6
	ds_write2_b64 v117, v[16:17], v[20:21] offset0:8 offset1:10
	;; [unrolled: 1-line block ×4, first 2 shown]
	ds_write2_b64 v117, v[24:25], v[6:7] offset1:2
	ds_write_b64 v117, v[26:27] offset:160
	s_and_saveexec_b32 s1, s0
	s_cbranch_execz .LBB0_16
; %bb.15:
	v_add_f64 v[6:7], v[4:5], v[46:47]
	v_add_f64 v[10:11], v[48:49], -v[42:43]
	v_add_f64 v[16:17], v[38:39], -v[28:29]
	v_add_f64 v[26:27], v[46:47], v[92:93]
	v_add_f64 v[14:15], v[32:33], -v[44:45]
	v_add_f64 v[24:25], v[34:35], v[110:111]
	;; [unrolled: 2-line block ×4, first 2 shown]
	v_add_f64 v[18:19], v[64:65], v[68:69]
	v_add_f64 v[6:7], v[6:7], v[34:35]
	v_mul_f64 v[120:121], v[10:11], s[14:15]
	v_mul_f64 v[124:125], v[10:11], s[12:13]
	;; [unrolled: 1-line block ×21, first 2 shown]
	v_add_f64 v[6:7], v[6:7], v[30:31]
	v_fma_f64 v[158:159], v[26:27], s[34:35], -v[120:121]
	v_fma_f64 v[120:121], v[26:27], s[34:35], v[120:121]
	v_fma_f64 v[160:161], v[26:27], s[26:27], -v[124:125]
	v_fma_f64 v[124:125], v[26:27], s[26:27], v[124:125]
	v_fma_f64 v[162:163], v[26:27], s[16:17], v[128:129]
	;; [unrolled: 1-line block ×3, first 2 shown]
	v_fma_f64 v[128:129], v[26:27], s[16:17], -v[128:129]
	v_fma_f64 v[130:131], v[26:27], s[22:23], -v[130:131]
	v_fma_f64 v[166:167], v[26:27], s[28:29], v[10:11]
	v_fma_f64 v[10:11], v[26:27], s[28:29], -v[10:11]
	v_fma_f64 v[26:27], v[24:25], s[28:29], -v[132:133]
	v_fma_f64 v[132:133], v[24:25], s[28:29], v[132:133]
	v_fma_f64 v[168:169], v[24:25], s[16:17], -v[140:141]
	v_fma_f64 v[140:141], v[24:25], s[16:17], v[140:141]
	;; [unrolled: 2-line block ×5, first 2 shown]
	v_fma_f64 v[176:177], v[22:23], s[22:23], -v[146:147]
	v_add_f64 v[6:7], v[6:7], v[40:41]
	v_add_f64 v[24:25], v[4:5], v[158:159]
	;; [unrolled: 1-line block ×11, first 2 shown]
	v_mul_f64 v[10:11], v[12:13], s[12:13]
	v_fma_f64 v[12:13], v[22:23], s[26:27], -v[126:127]
	v_fma_f64 v[126:127], v[22:23], s[26:27], v[126:127]
	v_fma_f64 v[166:167], v[22:23], s[28:29], -v[138:139]
	v_fma_f64 v[138:139], v[22:23], s[28:29], v[138:139]
	v_fma_f64 v[146:147], v[22:23], s[22:23], v[146:147]
	v_fma_f64 v[178:179], v[22:23], s[34:35], -v[156:157]
	v_fma_f64 v[156:157], v[22:23], s[34:35], v[156:157]
	v_fma_f64 v[180:181], v[22:23], s[16:17], -v[14:15]
	v_fma_f64 v[14:15], v[22:23], s[16:17], v[14:15]
	v_mul_f64 v[142:143], v[8:9], s[12:13]
	v_add_f64 v[6:7], v[6:7], v[64:65]
	v_add_f64 v[22:23], v[26:27], v[24:25]
	;; [unrolled: 1-line block ×11, first 2 shown]
	v_mul_f64 v[150:151], v[8:9], s[24:25]
	v_mul_f64 v[8:9], v[8:9], s[14:15]
	v_fma_f64 v[140:141], v[20:21], s[22:23], -v[122:123]
	v_fma_f64 v[122:123], v[20:21], s[22:23], v[122:123]
	v_fma_f64 v[148:149], v[20:21], s[34:35], -v[136:137]
	v_fma_f64 v[136:137], v[20:21], s[34:35], v[136:137]
	v_fma_f64 v[152:153], v[20:21], s[28:29], -v[144:145]
	v_fma_f64 v[144:145], v[20:21], s[28:29], v[144:145]
	v_fma_f64 v[158:159], v[20:21], s[16:17], -v[154:155]
	v_fma_f64 v[154:155], v[20:21], s[16:17], v[154:155]
	v_fma_f64 v[160:161], v[20:21], s[26:27], -v[10:11]
	v_add_f64 v[6:7], v[6:7], v[68:69]
	v_fma_f64 v[10:11], v[20:21], s[26:27], v[10:11]
	v_add_f64 v[12:13], v[12:13], v[22:23]
	v_add_f64 v[20:21], v[126:127], v[24:25]
	;; [unrolled: 1-line block ×10, first 2 shown]
	v_fma_f64 v[16:17], v[18:19], s[16:17], -v[118:119]
	v_fma_f64 v[118:119], v[18:19], s[16:17], v[118:119]
	v_fma_f64 v[128:129], v[18:19], s[22:23], -v[134:135]
	v_fma_f64 v[130:131], v[18:19], s[22:23], v[134:135]
	;; [unrolled: 2-line block ×5, first 2 shown]
	v_add_f64 v[6:7], v[6:7], v[94:95]
	v_add_f64 v[12:13], v[140:141], v[12:13]
	v_add_f64 v[18:19], v[122:123], v[20:21]
	v_add_f64 v[20:21], v[148:149], v[22:23]
	v_add_f64 v[22:23], v[136:137], v[24:25]
	v_add_f64 v[24:25], v[144:145], v[26:27]
	v_add_f64 v[26:27], v[154:155], v[120:121]
	v_add_f64 v[120:121], v[152:153], v[124:125]
	v_add_f64 v[122:123], v[158:159], v[126:127]
	v_add_f64 v[10:11], v[10:11], v[14:15]
	v_add_f64 v[4:5], v[160:161], v[4:5]
	v_mul_u32_u24_e32 v124, 22, v116
	v_add_f64 v[6:7], v[6:7], v[96:97]
	v_add_f64 v[12:13], v[16:17], v[12:13]
	;; [unrolled: 1-line block ×11, first 2 shown]
	v_or_b32_e32 v10, v124, v115
	v_lshlrev_b32_e32 v10, 3, v10
	v_add3_u32 v10, 0, v10, v101
	v_add_f64 v[6:7], v[6:7], v[110:111]
	v_add_f64 v[6:7], v[6:7], v[92:93]
	ds_write2_b64 v10, v[22:23], v[20:21] offset0:4 offset1:6
	ds_write2_b64 v10, v[18:19], v[14:15] offset0:8 offset1:10
	;; [unrolled: 1-line block ×4, first 2 shown]
	ds_write2_b64 v10, v[6:7], v[8:9] offset1:2
	ds_write_b64 v10, v[4:5] offset:160
.LBB0_16:
	s_or_b32 exec_lo, exec_lo, s1
	v_add_f64 v[4:5], v[0:1], v[108:109]
	v_add_f64 v[6:7], v[108:109], v[66:67]
	;; [unrolled: 1-line block ×3, first 2 shown]
	v_add_f64 v[12:13], v[86:87], -v[104:105]
	v_add_f64 v[24:25], v[74:75], -v[76:77]
	;; [unrolled: 1-line block ×3, first 2 shown]
	s_mov_b32 s37, 0x3fe82f19
	s_mov_b32 s36, s12
	v_add_f64 v[10:11], v[90:91], v[56:57]
	v_add_f64 v[14:15], v[88:89], -v[98:99]
	v_add_f64 v[20:21], v[80:81], -v[82:83]
	v_add_f64 v[16:17], v[72:73], v[70:71]
	v_add_f64 v[22:23], v[62:63], v[50:51]
	s_waitcnt lgkmcnt(0)
	s_barrier
	buffer_gl0_inv
	v_add_f64 v[4:5], v[4:5], v[106:107]
	v_mul_f64 v[26:27], v[6:7], s[28:29]
	v_mul_f64 v[74:75], v[6:7], s[22:23]
	;; [unrolled: 1-line block ×19, first 2 shown]
	v_add_f64 v[4:5], v[4:5], v[90:91]
	v_fma_f64 v[124:125], v[12:13], s[24:25], v[26:27]
	v_fma_f64 v[126:127], v[12:13], s[30:31], v[74:75]
	;; [unrolled: 1-line block ×10, first 2 shown]
	v_mul_f64 v[90:91], v[10:11], s[22:23]
	v_fma_f64 v[134:135], v[14:15], s[36:37], v[82:83]
	v_fma_f64 v[82:83], v[14:15], s[12:13], v[82:83]
	;; [unrolled: 1-line block ×10, first 2 shown]
	v_add_f64 v[4:5], v[4:5], v[72:73]
	v_mul_f64 v[72:73], v[10:11], s[16:17]
	v_mul_f64 v[10:11], v[10:11], s[26:27]
	v_add_f64 v[74:75], v[0:1], v[74:75]
	v_mul_f64 v[26:27], v[22:23], s[26:27]
	v_add_f64 v[78:79], v[0:1], v[78:79]
	v_add_f64 v[6:7], v[0:1], v[6:7]
	;; [unrolled: 1-line block ×3, first 2 shown]
	v_fma_f64 v[142:143], v[18:19], s[6:7], v[90:91]
	v_fma_f64 v[90:91], v[18:19], s[30:31], v[90:91]
	v_add_f64 v[4:5], v[4:5], v[62:63]
	v_fma_f64 v[62:63], v[14:15], s[30:31], v[80:81]
	v_fma_f64 v[80:81], v[14:15], s[6:7], v[80:81]
	v_add_f64 v[14:15], v[0:1], v[124:125]
	v_add_f64 v[124:125], v[0:1], v[126:127]
	;; [unrolled: 1-line block ×6, first 2 shown]
	v_fma_f64 v[132:133], v[18:19], s[14:15], v[88:89]
	v_fma_f64 v[88:89], v[18:19], s[18:19], v[88:89]
	;; [unrolled: 1-line block ×4, first 2 shown]
	v_add_f64 v[78:79], v[86:87], v[78:79]
	v_add_f64 v[6:7], v[8:9], v[6:7]
	;; [unrolled: 1-line block ×3, first 2 shown]
	v_mul_f64 v[12:13], v[22:23], s[22:23]
	v_mul_f64 v[22:23], v[22:23], s[16:17]
	v_fma_f64 v[76:77], v[20:21], s[12:13], v[104:105]
	v_fma_f64 v[84:85], v[20:21], s[20:21], v[106:107]
	v_add_f64 v[4:5], v[4:5], v[50:51]
	v_fma_f64 v[50:51], v[18:19], s[20:21], v[72:73]
	v_fma_f64 v[72:73], v[18:19], s[10:11], v[72:73]
	v_add_f64 v[14:15], v[62:63], v[14:15]
	v_add_f64 v[18:19], v[134:135], v[124:125]
	;; [unrolled: 1-line block ×7, first 2 shown]
	v_fma_f64 v[80:81], v[20:21], s[10:11], v[106:107]
	v_fma_f64 v[106:107], v[20:21], s[4:5], v[108:109]
	;; [unrolled: 1-line block ×4, first 2 shown]
	v_add_f64 v[6:7], v[10:11], v[6:7]
	v_add_f64 v[8:9], v[90:91], v[8:9]
	v_fma_f64 v[90:91], v[24:25], s[36:37], v[26:27]
	v_fma_f64 v[26:27], v[24:25], s[12:13], v[26:27]
	v_add_f64 v[4:5], v[4:5], v[70:71]
	v_fma_f64 v[70:71], v[20:21], s[36:37], v[104:105]
	v_fma_f64 v[104:105], v[20:21], s[24:25], v[108:109]
	v_add_f64 v[14:15], v[50:51], v[14:15]
	v_add_f64 v[18:19], v[132:133], v[18:19]
	v_fma_f64 v[108:109], v[20:21], s[18:19], v[118:119]
	v_add_f64 v[50:51], v[142:143], v[74:75]
	v_fma_f64 v[118:119], v[20:21], s[14:15], v[118:119]
	v_add_f64 v[20:21], v[88:89], v[62:63]
	v_add_f64 v[62:63], v[144:145], v[82:83]
	;; [unrolled: 1-line block ×5, first 2 shown]
	v_fma_f64 v[72:73], v[24:25], s[18:19], v[120:121]
	v_fma_f64 v[82:83], v[24:25], s[14:15], v[120:121]
	;; [unrolled: 1-line block ×8, first 2 shown]
	v_add_f64 v[16:17], v[16:17], v[6:7]
	v_add_f64 v[4:5], v[4:5], v[56:57]
	v_add_nc_u32_e32 v56, 0x1000, v114
	v_add_nc_u32_e32 v57, 0x1400, v114
	v_add_f64 v[24:25], v[70:71], v[14:15]
	v_add_f64 v[18:19], v[80:81], v[18:19]
	;; [unrolled: 1-line block ×9, first 2 shown]
	v_add_nc_u32_e32 v62, 0x1800, v114
	v_add_f64 v[104:105], v[4:5], v[54:55]
	v_add_nc_u32_e32 v54, 0x400, v114
	v_add_nc_u32_e32 v55, 0x800, v114
	ds_read2_b64 v[4:7], v114 offset0:77 offset1:154
	ds_read_b64 v[0:1], v113
	ds_read_b64 v[50:51], v114 offset:8008
	ds_read2_b64 v[8:11], v54 offset0:103 offset1:180
	ds_read2_b64 v[12:15], v55 offset0:129 offset1:206
	v_add_f64 v[86:87], v[86:87], v[18:19]
	v_add_f64 v[70:71], v[90:91], v[70:71]
	;; [unrolled: 1-line block ×8, first 2 shown]
	ds_read2_b64 v[20:23], v56 offset0:27 offset1:104
	ds_read2_b64 v[16:19], v57 offset0:53 offset1:130
	ds_read2_b64 v[24:27], v62 offset0:79 offset1:156
	v_add_f64 v[74:75], v[120:121], v[74:75]
	v_add_f64 v[76:77], v[82:83], v[76:77]
	s_waitcnt lgkmcnt(0)
	s_barrier
	buffer_gl0_inv
	v_add_f64 v[66:67], v[104:105], v[66:67]
	ds_write2_b64 v117, v[86:87], v[70:71] offset0:4 offset1:6
	ds_write2_b64 v117, v[80:81], v[78:79] offset0:8 offset1:10
	;; [unrolled: 1-line block ×4, first 2 shown]
	ds_write2_b64 v117, v[66:67], v[72:73] offset1:2
	ds_write_b64 v117, v[76:77] offset:160
	s_and_saveexec_b32 s33, s0
	s_cbranch_execz .LBB0_18
; %bb.17:
	v_add_f64 v[66:67], v[2:3], v[48:49]
	v_add_f64 v[48:49], v[48:49], v[42:43]
	s_mov_b32 s22, 0x8764f0ba
	s_mov_b32 s20, 0xd9c712b6
	;; [unrolled: 1-line block ×8, first 2 shown]
	v_add_f64 v[46:47], v[46:47], -v[92:93]
	v_add_f64 v[63:64], v[64:65], -v[68:69]
	v_add_f64 v[70:71], v[36:37], v[52:53]
	s_mov_b32 s0, 0xf8bb580b
	s_mov_b32 s6, 0x8eee2c13
	;; [unrolled: 1-line block ×9, first 2 shown]
	v_add_f64 v[66:67], v[66:67], v[38:39]
	v_add_f64 v[38:39], v[38:39], v[28:29]
	v_mul_f64 v[68:69], v[48:49], s[22:23]
	v_mul_f64 v[74:75], v[48:49], s[20:21]
	;; [unrolled: 1-line block ×5, first 2 shown]
	s_mov_b32 s10, s6
	s_mov_b32 s19, 0xbfe82f19
	;; [unrolled: 1-line block ×5, first 2 shown]
	v_add_f64 v[34:35], v[34:35], -v[110:111]
	s_mov_b32 s26, s24
	s_mov_b32 s15, 0xbfefac9e
	;; [unrolled: 1-line block ×5, first 2 shown]
	v_add_f64 v[30:31], v[30:31], -v[96:97]
	v_add_f64 v[40:41], v[40:41], -v[94:95]
	v_add_f64 v[72:73], v[60:61], v[58:59]
	v_mul_f64 v[94:95], v[70:71], s[28:29]
	v_add_f64 v[66:67], v[66:67], v[32:33]
	v_add_f64 v[32:33], v[32:33], v[44:45]
	v_mul_f64 v[80:81], v[38:39], s[20:21]
	v_mul_f64 v[82:83], v[38:39], s[28:29]
	;; [unrolled: 1-line block ×5, first 2 shown]
	v_fma_f64 v[110:111], v[46:47], s[0:1], v[68:69]
	v_fma_f64 v[117:118], v[46:47], s[6:7], v[74:75]
	;; [unrolled: 1-line block ×10, first 2 shown]
	v_mul_f64 v[96:97], v[70:71], s[16:17]
	v_mul_f64 v[98:99], v[70:71], s[22:23]
	v_mul_f64 v[104:105], v[70:71], s[30:31]
	v_mul_f64 v[70:71], v[70:71], s[20:21]
	v_mul_f64 v[106:107], v[72:73], s[30:31]
	v_add_f64 v[36:37], v[66:67], v[36:37]
	v_mul_f64 v[65:66], v[32:33], s[16:17]
	v_mul_f64 v[88:89], v[32:33], s[30:31]
	v_mul_f64 v[90:91], v[32:33], s[20:21]
	v_mul_f64 v[92:93], v[32:33], s[22:23]
	v_mul_f64 v[32:33], v[32:33], s[28:29]
	v_fma_f64 v[67:68], v[34:35], s[6:7], v[80:81]
	v_fma_f64 v[80:81], v[34:35], s[10:11], v[80:81]
	;; [unrolled: 1-line block ×10, first 2 shown]
	v_add_f64 v[38:39], v[2:3], v[110:111]
	v_add_f64 v[110:111], v[2:3], v[117:118]
	;; [unrolled: 1-line block ×11, first 2 shown]
	v_fma_f64 v[123:124], v[30:31], s[26:27], v[88:89]
	v_fma_f64 v[88:89], v[30:31], s[24:25], v[88:89]
	;; [unrolled: 1-line block ×7, first 2 shown]
	v_mul_f64 v[108:109], v[72:73], s[22:23]
	v_mul_f64 v[60:61], v[72:73], s[28:29]
	;; [unrolled: 1-line block ×3, first 2 shown]
	v_add_f64 v[78:79], v[86:87], v[78:79]
	v_add_f64 v[36:37], v[36:37], v[58:59]
	v_fma_f64 v[58:59], v[30:31], s[12:13], v[65:66]
	v_fma_f64 v[65:66], v[30:31], s[14:15], v[65:66]
	;; [unrolled: 1-line block ×3, first 2 shown]
	v_add_f64 v[32:33], v[67:68], v[38:39]
	v_add_f64 v[38:39], v[125:126], v[110:111]
	v_add_f64 v[67:68], v[82:83], v[74:75]
	v_add_f64 v[74:75], v[127:128], v[117:118]
	v_add_f64 v[82:83], v[129:130], v[119:120]
	v_add_f64 v[86:87], v[131:132], v[121:122]
	v_add_f64 v[34:35], v[34:35], v[48:49]
	v_add_f64 v[48:49], v[84:85], v[76:77]
	v_add_f64 v[2:3], v[80:81], v[2:3]
	v_fma_f64 v[76:77], v[40:41], s[18:19], v[94:95]
	v_fma_f64 v[80:81], v[40:41], s[14:15], v[96:97]
	;; [unrolled: 1-line block ×5, first 2 shown]
	v_add_f64 v[36:37], v[36:37], v[52:53]
	v_mul_f64 v[52:53], v[72:73], s[16:17]
	v_fma_f64 v[72:73], v[40:41], s[36:37], v[94:95]
	v_fma_f64 v[94:95], v[40:41], s[0:1], v[98:99]
	v_add_f64 v[32:33], v[58:59], v[32:33]
	v_add_f64 v[38:39], v[123:124], v[38:39]
	;; [unrolled: 1-line block ×4, first 2 shown]
	v_fma_f64 v[98:99], v[40:41], s[24:25], v[104:105]
	v_fma_f64 v[104:105], v[40:41], s[26:27], v[104:105]
	v_fma_f64 v[40:41], v[40:41], s[6:7], v[70:71]
	v_add_f64 v[69:70], v[135:136], v[82:83]
	v_add_f64 v[74:75], v[92:93], v[78:79]
	;; [unrolled: 1-line block ×6, first 2 shown]
	v_fma_f64 v[48:49], v[63:64], s[26:27], v[106:107]
	v_fma_f64 v[65:66], v[63:64], s[4:5], v[108:109]
	;; [unrolled: 1-line block ×5, first 2 shown]
	v_add_f64 v[36:37], v[36:37], v[44:45]
	v_fma_f64 v[44:45], v[63:64], s[24:25], v[106:107]
	v_fma_f64 v[88:89], v[63:64], s[10:11], v[46:47]
	;; [unrolled: 1-line block ×5, first 2 shown]
	v_add_f64 v[38:39], v[80:81], v[38:39]
	v_add_f64 v[63:64], v[94:95], v[67:68]
	;; [unrolled: 1-line block ×4, first 2 shown]
	v_mul_u32_u24_e32 v73, 22, v116
	v_add_f64 v[67:68], v[98:99], v[69:70]
	v_add_f64 v[69:70], v[104:105], v[74:75]
	;; [unrolled: 1-line block ×18, first 2 shown]
	v_or_b32_e32 v42, v73, v115
	v_lshlrev_b32_e32 v42, 3, v42
	v_add3_u32 v42, 0, v42, v101
	ds_write2_b64 v42, v[36:37], v[40:41] offset0:4 offset1:6
	ds_write2_b64 v42, v[44:45], v[58:59] offset0:8 offset1:10
	;; [unrolled: 1-line block ×4, first 2 shown]
	ds_write2_b64 v42, v[28:29], v[32:33] offset1:2
	ds_write_b64 v42, v[2:3] offset:160
.LBB0_18:
	s_or_b32 exec_lo, exec_lo, s33
	v_lshrrev_b16 v2, 1, v100
	v_lshrrev_b16 v3, 1, v112
	v_mov_b32_e32 v36, 6
	s_waitcnt lgkmcnt(0)
	s_barrier
	v_and_b32_e32 v2, 0x7f, v2
	buffer_gl0_inv
	v_mov_b32_e32 v120, 3
	s_mov_b32 s10, 0x37e14327
	s_mov_b32 s0, 0x36b3c0b5
	v_mul_lo_u16 v2, 0xbb, v2
	s_mov_b32 s14, 0xe976ee23
	s_mov_b32 s11, 0x3fe948f6
	;; [unrolled: 1-line block ×4, first 2 shown]
	v_lshrrev_b16 v52, 11, v2
	v_and_b32_e32 v2, 0x7f, v3
	s_mov_b32 s4, 0x429ad128
	s_mov_b32 s5, 0xbfebfeb5
	;; [unrolled: 1-line block ×3, first 2 shown]
	v_mul_lo_u16 v3, v52, 22
	v_mul_lo_u16 v2, 0xbb, v2
	v_and_b32_e32 v52, 0xffff, v52
	s_mov_b32 s12, 0x5476071b
	s_mov_b32 s20, 0xb247c609
	v_sub_nc_u16 v53, v100, v3
	v_lshrrev_b16 v99, 11, v2
	v_mad_u32_u24 v141, 0x4d0, v52, 0
	s_mov_b32 s7, 0xbff2aaaa
	s_mov_b32 s13, 0x3fe77f67
	v_mul_u32_u24_sdwa v2, v53, v36 dst_sel:DWORD dst_unused:UNUSED_PAD src0_sel:BYTE_0 src1_sel:DWORD
	v_mul_lo_u16 v3, v99, 22
	v_lshlrev_b32_sdwa v142, v120, v53 dst_sel:DWORD dst_unused:UNUSED_PAD src0_sel:DWORD src1_sel:BYTE_0
	s_mov_b32 s17, 0xbfe77f67
	s_mov_b32 s21, 0xbfd5d0dc
	v_lshlrev_b32_e32 v2, 4, v2
	v_sub_nc_u16 v119, v112, v3
	s_mov_b32 s16, s12
	s_mov_b32 s23, 0x3fd5d0dc
	s_mov_b32 s22, s20
	s_clause 0x1
	global_load_dwordx4 v[28:31], v2, s[8:9] offset:320
	global_load_dwordx4 v[32:35], v2, s[8:9] offset:336
	v_mul_u32_u24_sdwa v3, v119, v36 dst_sel:DWORD dst_unused:UNUSED_PAD src0_sel:BYTE_0 src1_sel:DWORD
	s_clause 0x1
	global_load_dwordx4 v[36:39], v2, s[8:9] offset:352
	global_load_dwordx4 v[40:43], v2, s[8:9] offset:400
	v_lshlrev_b32_sdwa v143, v120, v119 dst_sel:DWORD dst_unused:UNUSED_PAD src0_sel:DWORD src1_sel:BYTE_0
	s_mov_b32 s18, 0x37c3f68c
	s_mov_b32 s19, 0xbfdc38aa
	v_lshlrev_b32_e32 v3, 4, v3
	v_and_b32_e32 v99, 0xffff, v99
	s_clause 0x7
	global_load_dwordx4 v[44:47], v2, s[8:9] offset:384
	global_load_dwordx4 v[58:61], v2, s[8:9] offset:368
	;; [unrolled: 1-line block ×8, first 2 shown]
	ds_read2_b64 v[87:90], v114 offset0:77 offset1:154
	ds_read2_b64 v[91:94], v54 offset0:103 offset1:180
	;; [unrolled: 1-line block ×6, first 2 shown]
	ds_read_b64 v[2:3], v113
	ds_read_b64 v[48:49], v114 offset:8008
	s_waitcnt vmcnt(0) lgkmcnt(0)
	v_mad_u32_u24 v99, 0x4d0, v99, 0
	s_barrier
	buffer_gl0_inv
	v_mul_f64 v[52:53], v[89:90], v[30:31]
	v_mul_f64 v[119:120], v[93:94], v[34:35]
	;; [unrolled: 1-line block ×22, first 2 shown]
	v_fma_f64 v[6:7], v[6:7], v[28:29], v[52:53]
	v_fma_f64 v[10:11], v[10:11], v[32:33], v[119:120]
	v_mul_f64 v[139:140], v[108:109], v[85:86]
	v_fma_f64 v[26:27], v[26:27], v[40:41], v[123:124]
	v_fma_f64 v[18:19], v[18:19], v[44:45], v[125:126]
	v_mul_f64 v[85:86], v[16:17], v[85:86]
	v_fma_f64 v[28:29], v[89:90], v[28:29], -v[30:31]
	v_fma_f64 v[30:31], v[93:94], v[32:33], -v[34:35]
	v_fma_f64 v[32:33], v[117:118], v[40:41], -v[42:43]
	v_fma_f64 v[34:35], v[110:111], v[44:45], -v[46:47]
	v_fma_f64 v[14:15], v[14:15], v[36:37], v[121:122]
	v_fma_f64 v[22:23], v[22:23], v[58:59], v[127:128]
	;; [unrolled: 1-line block ×6, first 2 shown]
	v_fma_f64 v[36:37], v[97:98], v[36:37], -v[38:39]
	v_fma_f64 v[38:39], v[106:107], v[58:59], -v[60:61]
	;; [unrolled: 1-line block ×6, first 2 shown]
	v_fma_f64 v[20:21], v[20:21], v[79:80], v[137:138]
	v_fma_f64 v[50:51], v[104:105], v[79:80], -v[81:82]
	v_fma_f64 v[16:17], v[16:17], v[83:84], v[139:140]
	v_add_f64 v[58:59], v[6:7], v[26:27]
	v_add_f64 v[63:64], v[10:11], v[18:19]
	v_fma_f64 v[52:53], v[108:109], v[83:84], -v[85:86]
	v_add_f64 v[10:11], v[10:11], -v[18:19]
	v_add_f64 v[6:7], v[6:7], -v[26:27]
	v_add_f64 v[60:61], v[28:29], v[32:33]
	v_add_f64 v[65:66], v[30:31], v[34:35]
	v_add_f64 v[30:31], v[30:31], -v[34:35]
	v_add_f64 v[18:19], v[14:15], v[22:23]
	v_add_f64 v[14:15], v[22:23], -v[14:15]
	v_add_f64 v[28:29], v[28:29], -v[32:33]
	v_add_f64 v[22:23], v[8:9], v[40:41]
	v_add_f64 v[34:35], v[12:13], v[24:25]
	v_add_f64 v[8:9], v[8:9], -v[40:41]
	v_add_f64 v[26:27], v[36:37], v[38:39]
	v_add_f64 v[36:37], v[38:39], -v[36:37]
	;; [unrolled: 2-line block ×4, first 2 shown]
	v_add_f64 v[38:39], v[42:43], -v[44:45]
	v_add_f64 v[42:43], v[20:21], v[16:17]
	v_add_f64 v[16:17], v[16:17], -v[20:21]
	v_add_f64 v[46:47], v[63:64], v[58:59]
	;; [unrolled: 2-line block ×3, first 2 shown]
	v_add_f64 v[50:51], v[63:64], -v[58:59]
	v_add3_u32 v97, v141, v142, v101
	v_add_f64 v[48:49], v[65:66], v[60:61]
	v_add_f64 v[52:53], v[65:66], -v[60:61]
	v_add_f64 v[58:59], v[58:59], -v[18:19]
	;; [unrolled: 1-line block ×3, first 2 shown]
	v_add_f64 v[67:68], v[14:15], v[10:11]
	v_add_f64 v[73:74], v[14:15], -v[10:11]
	v_add_f64 v[69:70], v[34:35], v[22:23]
	v_add_f64 v[79:80], v[34:35], -v[22:23]
	v_add_f64 v[60:61], v[60:61], -v[26:27]
	v_add_f64 v[65:66], v[26:27], -v[65:66]
	v_add_f64 v[71:72], v[36:37], v[30:31]
	v_add_f64 v[75:76], v[36:37], -v[30:31]
	v_add_f64 v[77:78], v[40:41], v[32:33]
	v_add_f64 v[30:31], v[30:31], -v[28:29]
	v_add_f64 v[14:15], v[6:7], -v[14:15]
	;; [unrolled: 1-line block ×4, first 2 shown]
	v_add_f64 v[18:19], v[18:19], v[46:47]
	v_add_f64 v[46:47], v[20:21], v[24:25]
	v_add_f64 v[89:90], v[20:21], -v[24:25]
	v_add_f64 v[83:84], v[16:17], v[12:13]
	v_add_f64 v[24:25], v[24:25], -v[38:39]
	v_add_f64 v[36:37], v[28:29], -v[36:37]
	;; [unrolled: 1-line block ×7, first 2 shown]
	v_add_f64 v[42:43], v[42:43], v[69:70]
	v_add_f64 v[12:13], v[12:13], -v[8:9]
	v_add_f64 v[26:27], v[26:27], v[48:49]
	v_add_f64 v[6:7], v[67:68], v[6:7]
	;; [unrolled: 1-line block ×3, first 2 shown]
	v_mul_f64 v[48:49], v[58:59], s[10:11]
	v_mul_f64 v[58:59], v[60:61], s[10:11]
	;; [unrolled: 1-line block ×5, first 2 shown]
	v_add_f64 v[44:45], v[44:45], v[77:78]
	v_add_f64 v[0:1], v[0:1], v[18:19]
	v_mul_f64 v[75:76], v[30:31], s[4:5]
	v_add_f64 v[20:21], v[38:39], -v[20:21]
	v_add_f64 v[38:39], v[46:47], v[38:39]
	v_mul_f64 v[22:23], v[22:23], s[10:11]
	v_mul_f64 v[46:47], v[89:90], s[14:15]
	v_add_f64 v[16:17], v[8:9], -v[16:17]
	v_add_f64 v[8:9], v[83:84], v[8:9]
	v_mul_f64 v[77:78], v[24:25], s[4:5]
	v_mul_f64 v[83:84], v[34:35], s[0:1]
	;; [unrolled: 1-line block ×3, first 2 shown]
	v_add_f64 v[4:5], v[4:5], v[42:43]
	v_mul_f64 v[73:74], v[10:11], s[4:5]
	v_mul_f64 v[32:33], v[32:33], s[10:11]
	;; [unrolled: 1-line block ×5, first 2 shown]
	v_add_f64 v[93:94], v[2:3], v[26:27]
	v_fma_f64 v[2:3], v[63:64], s[0:1], v[48:49]
	v_fma_f64 v[63:64], v[65:66], s[0:1], v[58:59]
	v_fma_f64 v[60:61], v[50:51], s[12:13], -v[60:61]
	v_fma_f64 v[65:66], v[52:53], s[12:13], -v[67:68]
	;; [unrolled: 1-line block ×4, first 2 shown]
	v_fma_f64 v[52:53], v[36:37], s[20:21], v[71:72]
	v_add_f64 v[58:59], v[87:88], v[44:45]
	v_fma_f64 v[18:19], v[18:19], s[6:7], v[0:1]
	v_fma_f64 v[30:31], v[30:31], s[4:5], -v[71:72]
	v_fma_f64 v[36:37], v[36:37], s[22:23], -v[75:76]
	v_fma_f64 v[34:35], v[34:35], s[0:1], v[22:23]
	v_fma_f64 v[71:72], v[20:21], s[20:21], v[46:47]
	v_fma_f64 v[24:25], v[24:25], s[4:5], -v[46:47]
	v_fma_f64 v[20:21], v[20:21], s[22:23], -v[77:78]
	v_fma_f64 v[42:43], v[42:43], s[6:7], v[4:5]
	v_fma_f64 v[22:23], v[79:80], s[16:17], -v[22:23]
	v_fma_f64 v[46:47], v[79:80], s[12:13], -v[83:84]
	;; [unrolled: 3-line block ×3, first 2 shown]
	v_fma_f64 v[40:41], v[40:41], s[0:1], v[32:33]
	v_fma_f64 v[69:70], v[81:82], s[12:13], -v[89:90]
	v_fma_f64 v[73:74], v[16:17], s[20:21], v[85:86]
	v_fma_f64 v[26:27], v[26:27], s[6:7], v[93:94]
	v_fma_f64 v[32:33], v[81:82], s[16:17], -v[32:33]
	v_fma_f64 v[12:13], v[12:13], s[4:5], -v[85:86]
	;; [unrolled: 1-line block ×3, first 2 shown]
	v_fma_f64 v[52:53], v[28:29], s[18:19], v[52:53]
	v_fma_f64 v[44:45], v[44:45], s[6:7], v[58:59]
	v_add_f64 v[2:3], v[2:3], v[18:19]
	v_fma_f64 v[30:31], v[28:29], s[18:19], v[30:31]
	v_fma_f64 v[28:29], v[28:29], s[18:19], v[36:37]
	v_add_f64 v[36:37], v[48:49], v[18:19]
	v_add_f64 v[18:19], v[60:61], v[18:19]
	v_fma_f64 v[48:49], v[38:39], s[18:19], v[71:72]
	v_fma_f64 v[24:25], v[38:39], s[18:19], v[24:25]
	v_add_f64 v[34:35], v[34:35], v[42:43]
	v_fma_f64 v[20:21], v[38:39], s[18:19], v[20:21]
	v_add_f64 v[22:23], v[22:23], v[42:43]
	v_add_f64 v[38:39], v[46:47], v[42:43]
	v_fma_f64 v[42:43], v[6:7], s[18:19], v[67:68]
	v_fma_f64 v[10:11], v[6:7], s[18:19], v[10:11]
	;; [unrolled: 1-line block ×3, first 2 shown]
	v_add3_u32 v98, v99, v143, v101
	v_fma_f64 v[14:15], v[8:9], s[18:19], v[73:74]
	v_add_f64 v[46:47], v[63:64], v[26:27]
	v_add_f64 v[50:51], v[50:51], v[26:27]
	;; [unrolled: 1-line block ×3, first 2 shown]
	v_fma_f64 v[12:13], v[8:9], s[18:19], v[12:13]
	v_fma_f64 v[8:9], v[8:9], s[18:19], v[16:17]
	v_add_f64 v[16:17], v[40:41], v[44:45]
	v_add_f64 v[40:41], v[69:70], v[44:45]
	;; [unrolled: 1-line block ×5, first 2 shown]
	v_add_f64 v[63:64], v[18:19], -v[30:31]
	v_add_f64 v[18:19], v[30:31], v[18:19]
	v_add_f64 v[28:29], v[36:37], -v[28:29]
	v_add_f64 v[2:3], v[2:3], -v[52:53]
	v_add_f64 v[30:31], v[48:49], v[34:35]
	v_add_f64 v[36:37], v[20:21], v[22:23]
	v_add_f64 v[52:53], v[38:39], -v[24:25]
	v_add_f64 v[24:25], v[24:25], v[38:39]
	v_add_f64 v[20:21], v[22:23], -v[20:21]
	v_add_f64 v[22:23], v[34:35], -v[48:49]
	ds_write2_b64 v97, v[0:1], v[44:45] offset1:22
	ds_write2_b64 v97, v[60:61], v[63:64] offset0:44 offset1:66
	ds_write2_b64 v97, v[18:19], v[28:29] offset0:88 offset1:110
	ds_write_b64 v97, v[2:3] offset:1056
	ds_write2_b64 v98, v[4:5], v[30:31] offset1:22
	ds_write2_b64 v98, v[36:37], v[52:53] offset0:44 offset1:66
	ds_write2_b64 v98, v[24:25], v[20:21] offset0:88 offset1:110
	ds_write_b64 v98, v[22:23] offset:1056
	v_add_f64 v[34:35], v[46:47], -v[42:43]
	v_add_f64 v[38:39], v[50:51], -v[6:7]
	v_add_f64 v[48:49], v[10:11], v[26:27]
	v_add_f64 v[65:66], v[26:27], -v[10:11]
	v_add_f64 v[50:51], v[6:7], v[50:51]
	v_add_f64 v[42:43], v[42:43], v[46:47]
	v_add_f64 v[46:47], v[16:17], -v[14:15]
	v_add_f64 v[67:68], v[32:33], -v[8:9]
	v_add_f64 v[69:70], v[12:13], v[40:41]
	v_add_f64 v[40:41], v[40:41], -v[12:13]
	v_add_f64 v[32:33], v[8:9], v[32:33]
	v_add_f64 v[71:72], v[14:15], v[16:17]
	s_waitcnt lgkmcnt(0)
	s_barrier
	buffer_gl0_inv
	ds_read2_b64 v[0:3], v114 offset0:77 offset1:154
	ds_read2_b64 v[12:15], v54 offset0:103 offset1:180
	;; [unrolled: 1-line block ×6, first 2 shown]
	ds_read_b64 v[24:25], v113
	ds_read_b64 v[26:27], v114 offset:8008
	s_waitcnt lgkmcnt(0)
	s_barrier
	buffer_gl0_inv
	ds_write2_b64 v97, v[93:94], v[34:35] offset1:22
	ds_write2_b64 v97, v[38:39], v[48:49] offset0:44 offset1:66
	ds_write2_b64 v97, v[65:66], v[50:51] offset0:88 offset1:110
	ds_write_b64 v97, v[42:43] offset:1056
	ds_write2_b64 v98, v[58:59], v[46:47] offset1:22
	ds_write2_b64 v98, v[67:68], v[69:70] offset0:44 offset1:66
	ds_write2_b64 v98, v[40:41], v[32:33] offset0:88 offset1:110
	ds_write_b64 v98, v[71:72] offset:1056
	s_waitcnt lgkmcnt(0)
	s_barrier
	buffer_gl0_inv
	s_and_saveexec_b32 s24, vcc_lo
	s_cbranch_execz .LBB0_20
; %bb.19:
	v_mul_u32_u24_e32 v28, 6, v112
	v_add_nc_u32_e32 v80, 0x1400, v114
	v_add_nc_u32_e32 v88, 0x800, v114
	;; [unrolled: 1-line block ×4, first 2 shown]
	v_lshlrev_b32_e32 v28, 4, v28
	v_add_nc_u32_e32 v96, 0x400, v114
	v_mov_b32_e32 v101, 0
	v_mul_hi_u32 v108, 0x3531dec1, v112
	v_add_co_u32 v46, s24, s8, v28
	v_mul_u32_u24_e32 v28, 6, v100
	v_add_co_ci_u32_e64 v47, null, s9, 0, s24
	v_add_co_u32 v44, vcc_lo, 0x800, v46
	v_lshlrev_b32_e32 v50, 4, v28
	v_add_co_ci_u32_e32 v45, vcc_lo, 0, v47, vcc_lo
	v_add_co_u32 v40, vcc_lo, 0x980, v46
	v_add_co_u32 v56, s8, s8, v50
	v_add_co_ci_u32_e32 v41, vcc_lo, 0, v47, vcc_lo
	v_add_co_u32 v48, vcc_lo, 0x9c0, v46
	v_add_co_ci_u32_e64 v57, null, s9, 0, s8
	v_add_co_ci_u32_e32 v49, vcc_lo, 0, v47, vcc_lo
	v_add_co_u32 v60, vcc_lo, 0x980, v56
	v_add_co_ci_u32_e32 v61, vcc_lo, 0, v57, vcc_lo
	v_add_co_u32 v68, vcc_lo, 0x800, v56
	;; [unrolled: 2-line block ×3, first 2 shown]
	v_add_co_ci_u32_e32 v73, vcc_lo, 0, v57, vcc_lo
	s_clause 0xb
	global_load_dwordx4 v[28:31], v[44:45], off offset:384
	global_load_dwordx4 v[32:35], v[40:41], off offset:48
	;; [unrolled: 1-line block ×12, first 2 shown]
	ds_read2_b64 v[76:79], v114 offset0:77 offset1:154
	ds_read_b64 v[104:105], v114 offset:8008
	ds_read_b64 v[106:107], v113
	ds_read2_b64 v[80:83], v80 offset0:53 offset1:130
	ds_read2_b64 v[84:87], v84 offset0:27 offset1:104
	;; [unrolled: 1-line block ×5, first 2 shown]
	v_add_co_u32 v109, vcc_lo, s2, v102
	v_add_co_ci_u32_e32 v110, vcc_lo, s3, v103, vcc_lo
	v_lshlrev_b64 v[102:103], 4, v[100:101]
	v_lshrrev_b32_e32 v100, 5, v108
	v_add_co_u32 v102, vcc_lo, v109, v102
	v_add_co_ci_u32_e32 v103, vcc_lo, v110, v103, vcc_lo
	v_mul_u32_u24_e32 v100, 0x39c, v100
	v_add_co_u32 v108, vcc_lo, 0x800, v102
	v_add_co_ci_u32_e32 v109, vcc_lo, 0, v103, vcc_lo
	v_add_co_u32 v110, vcc_lo, 0x1000, v102
	v_add_co_ci_u32_e32 v111, vcc_lo, 0, v103, vcc_lo
	;; [unrolled: 2-line block ×3, first 2 shown]
	v_add_co_u32 v114, vcc_lo, 0x2000, v102
	v_lshlrev_b64 v[100:101], 4, v[100:101]
	v_add_co_ci_u32_e32 v115, vcc_lo, 0, v103, vcc_lo
	v_add_co_u32 v116, vcc_lo, 0x3000, v102
	v_add_co_ci_u32_e32 v117, vcc_lo, 0, v103, vcc_lo
	v_add_co_u32 v100, vcc_lo, v102, v100
	;; [unrolled: 2-line block ×5, first 2 shown]
	v_add_co_ci_u32_e32 v123, vcc_lo, 0, v101, vcc_lo
	s_waitcnt vmcnt(11)
	v_mul_f64 v[132:133], v[12:13], v[28:29]
	s_waitcnt vmcnt(10)
	v_mul_f64 v[124:125], v[20:21], v[32:33]
	;; [unrolled: 2-line block ×6, first 2 shown]
	v_mul_f64 v[8:9], v[8:9], v[38:39]
	v_mul_f64 v[20:21], v[20:21], v[34:35]
	v_mul_f64 v[4:5], v[4:5], v[42:43]
	v_mul_f64 v[16:17], v[16:17], v[46:47]
	v_mul_f64 v[12:13], v[12:13], v[30:31]
	v_mul_f64 v[26:27], v[26:27], v[50:51]
	s_waitcnt vmcnt(3)
	v_mul_f64 v[140:141], v[14:15], v[60:61]
	s_waitcnt vmcnt(2)
	v_mul_f64 v[142:143], v[22:23], v[64:65]
	;; [unrolled: 2-line block ×4, first 2 shown]
	v_mul_f64 v[14:15], v[14:15], v[62:63]
	v_mul_f64 v[22:23], v[22:23], v[66:67]
	;; [unrolled: 1-line block ×8, first 2 shown]
	s_waitcnt lgkmcnt(4)
	v_fma_f64 v[34:35], v[80:81], v[34:35], v[124:125]
	s_waitcnt lgkmcnt(3)
	v_fma_f64 v[38:39], v[84:85], v[38:39], v[126:127]
	;; [unrolled: 2-line block ×5, first 2 shown]
	v_fma_f64 v[50:51], v[104:105], v[50:51], v[134:135]
	v_fma_f64 v[8:9], v[84:85], v[36:37], -v[8:9]
	v_fma_f64 v[20:21], v[80:81], v[32:33], -v[20:21]
	;; [unrolled: 1-line block ×6, first 2 shown]
	v_fma_f64 v[36:37], v[98:99], v[62:63], v[140:141]
	v_fma_f64 v[40:41], v[82:83], v[66:67], v[142:143]
	v_fma_f64 v[14:15], v[98:99], v[60:61], -v[14:15]
	v_fma_f64 v[22:23], v[82:83], v[64:65], -v[22:23]
	;; [unrolled: 1-line block ×4, first 2 shown]
	v_fma_f64 v[44:45], v[78:79], v[70:71], v[144:145]
	v_fma_f64 v[48:49], v[94:95], v[74:75], v[146:147]
	v_fma_f64 v[28:29], v[86:87], v[54:55], v[136:137]
	v_fma_f64 v[32:33], v[90:91], v[58:59], v[138:139]
	v_fma_f64 v[6:7], v[90:91], v[56:57], -v[6:7]
	v_fma_f64 v[10:11], v[86:87], v[52:53], -v[10:11]
	v_add_f64 v[52:53], v[34:35], -v[38:39]
	v_add_f64 v[54:55], v[42:43], -v[46:47]
	v_add_f64 v[34:35], v[34:35], v[38:39]
	v_add_f64 v[58:59], v[30:31], -v[50:51]
	v_add_f64 v[38:39], v[42:43], v[46:47]
	v_add_f64 v[60:61], v[20:21], v[8:9]
	v_add_f64 v[30:31], v[30:31], v[50:51]
	v_add_f64 v[62:63], v[4:5], v[16:17]
	v_add_f64 v[8:9], v[20:21], -v[8:9]
	v_add_f64 v[64:65], v[12:13], v[26:27]
	v_add_f64 v[4:5], v[4:5], -v[16:17]
	v_add_f64 v[12:13], v[12:13], -v[26:27]
	;; [unrolled: 1-line block ×3, first 2 shown]
	v_add_f64 v[16:17], v[14:15], v[22:23]
	v_add_f64 v[36:37], v[36:37], v[40:41]
	;; [unrolled: 1-line block ×3, first 2 shown]
	v_add_co_u32 v56, vcc_lo, 0x2000, v100
	v_add_f64 v[40:41], v[44:45], v[48:49]
	v_add_f64 v[26:27], v[28:29], -v[32:33]
	v_add_f64 v[46:47], v[44:45], -v[48:49]
	v_add_f64 v[50:51], v[10:11], v[6:7]
	v_add_f64 v[28:29], v[28:29], v[32:33]
	v_add_f64 v[6:7], v[10:11], -v[6:7]
	v_add_f64 v[10:11], v[14:15], -v[22:23]
	;; [unrolled: 1-line block ×3, first 2 shown]
	v_add_f64 v[2:3], v[52:53], v[54:55]
	v_add_f64 v[18:19], v[52:53], -v[54:55]
	v_add_f64 v[22:23], v[58:59], -v[52:53]
	;; [unrolled: 1-line block ×4, first 2 shown]
	v_add_f64 v[48:49], v[62:63], v[64:65]
	v_add_f64 v[68:69], v[38:39], v[30:31]
	;; [unrolled: 1-line block ×3, first 2 shown]
	v_add_f64 v[72:73], v[8:9], -v[4:5]
	v_add_f64 v[30:31], v[38:39], -v[30:31]
	;; [unrolled: 1-line block ×3, first 2 shown]
	v_add_f64 v[74:75], v[16:17], v[20:21]
	v_add_f64 v[32:33], v[60:61], -v[62:63]
	v_add_f64 v[44:45], v[64:65], -v[60:61]
	v_add_f64 v[4:5], v[36:37], v[40:41]
	v_add_f64 v[54:55], v[54:55], -v[58:59]
	v_add_f64 v[62:63], v[62:63], -v[64:65]
	;; [unrolled: 3-line block ×3, first 2 shown]
	v_add_f64 v[82:83], v[20:21], -v[50:51]
	v_add_f64 v[84:85], v[28:29], -v[36:37]
	;; [unrolled: 1-line block ×7, first 2 shown]
	v_add_f64 v[48:49], v[60:61], v[48:49]
	v_add_f64 v[88:89], v[6:7], v[10:11]
	v_add_f64 v[10:11], v[10:11], -v[14:15]
	v_add_f64 v[34:35], v[34:35], v[68:69]
	v_add_f64 v[8:9], v[12:13], -v[8:9]
	v_add_f64 v[26:27], v[46:47], -v[26:27]
	v_add_f64 v[36:37], v[50:51], v[74:75]
	v_add_f64 v[92:93], v[14:15], -v[6:7]
	v_add_f64 v[40:41], v[2:3], v[58:59]
	v_add_f64 v[28:29], v[28:29], v[4:5]
	v_mul_f64 v[18:19], v[18:19], s[14:15]
	v_mul_f64 v[50:51], v[32:33], s[0:1]
	;; [unrolled: 1-line block ×6, first 2 shown]
	v_add_f64 v[46:47], v[64:65], v[46:47]
	v_mul_f64 v[64:65], v[78:79], s[14:15]
	v_mul_f64 v[74:75], v[82:83], s[10:11]
	;; [unrolled: 1-line block ×5, first 2 shown]
	v_add_f64 v[2:3], v[76:77], v[48:49]
	v_add_f64 v[12:13], v[70:71], v[12:13]
	v_mul_f64 v[70:71], v[38:39], s[4:5]
	v_mul_f64 v[72:73], v[80:81], s[0:1]
	v_add_f64 v[14:15], v[88:89], v[14:15]
	v_mul_f64 v[88:89], v[10:11], s[4:5]
	v_add_f64 v[6:7], v[106:107], v[36:37]
	;; [unrolled: 2-line block ×3, first 2 shown]
	v_add_f64 v[4:5], v[24:25], v[28:29]
	v_mul_f64 v[68:69], v[52:53], s[0:1]
	v_fma_f64 v[90:91], v[22:23], s[20:21], v[18:19]
	v_fma_f64 v[32:33], v[32:33], s[0:1], v[44:45]
	v_fma_f64 v[44:45], v[62:63], s[16:17], -v[44:45]
	v_fma_f64 v[24:25], v[8:9], s[20:21], v[60:61]
	v_fma_f64 v[22:23], v[22:23], s[22:23], -v[66:67]
	v_fma_f64 v[50:51], v[62:63], s[12:13], -v[50:51]
	v_fma_f64 v[18:19], v[54:55], s[4:5], -v[18:19]
	v_fma_f64 v[38:39], v[38:39], s[4:5], -v[60:61]
	v_fma_f64 v[54:55], v[26:27], s[20:21], v[64:65]
	v_fma_f64 v[60:61], v[80:81], s[0:1], v[74:75]
	;; [unrolled: 1-line block ×4, first 2 shown]
	v_fma_f64 v[26:27], v[26:27], s[22:23], -v[82:83]
	v_fma_f64 v[42:43], v[42:43], s[4:5], -v[64:65]
	;; [unrolled: 1-line block ×3, first 2 shown]
	v_fma_f64 v[66:67], v[92:93], s[20:21], v[86:87]
	v_fma_f64 v[8:9], v[8:9], s[22:23], -v[70:71]
	v_fma_f64 v[36:37], v[36:37], s[6:7], v[6:7]
	v_fma_f64 v[16:17], v[16:17], s[12:13], -v[72:73]
	v_fma_f64 v[70:71], v[92:93], s[22:23], -v[88:89]
	v_fma_f64 v[28:29], v[28:29], s[6:7], v[4:5]
	v_fma_f64 v[72:73], v[20:21], s[16:17], -v[78:79]
	v_fma_f64 v[10:11], v[10:11], s[4:5], -v[86:87]
	;; [unrolled: 1-line block ×3, first 2 shown]
	v_fma_f64 v[52:53], v[52:53], s[0:1], v[58:59]
	v_fma_f64 v[34:35], v[34:35], s[6:7], v[0:1]
	v_fma_f64 v[58:59], v[30:31], s[16:17], -v[58:59]
	v_fma_f64 v[30:31], v[30:31], s[12:13], -v[68:69]
	v_fma_f64 v[68:69], v[40:41], s[18:19], v[90:91]
	v_fma_f64 v[74:75], v[12:13], s[18:19], v[24:25]
	;; [unrolled: 1-line block ×5, first 2 shown]
	v_add_f64 v[54:55], v[32:33], v[48:49]
	v_add_f64 v[32:33], v[44:45], v[48:49]
	;; [unrolled: 1-line block ×3, first 2 shown]
	v_fma_f64 v[48:49], v[46:47], s[18:19], v[26:27]
	v_fma_f64 v[42:43], v[46:47], s[18:19], v[42:43]
	;; [unrolled: 1-line block ×3, first 2 shown]
	v_add_f64 v[50:51], v[60:61], v[36:37]
	v_add_f64 v[46:47], v[64:65], v[36:37]
	v_fma_f64 v[60:61], v[14:15], s[18:19], v[66:67]
	v_add_f64 v[62:63], v[62:63], v[28:29]
	v_fma_f64 v[64:65], v[14:15], s[18:19], v[70:71]
	v_add_f64 v[66:67], v[72:73], v[28:29]
	v_add_f64 v[16:17], v[16:17], v[36:37]
	v_fma_f64 v[36:37], v[14:15], s[18:19], v[10:11]
	v_add_f64 v[20:21], v[20:21], v[28:29]
	v_add_f64 v[70:71], v[52:53], v[34:35]
	;; [unrolled: 1-line block ×3, first 2 shown]
	v_fma_f64 v[12:13], v[12:13], s[18:19], v[38:39]
	v_add_f64 v[72:73], v[30:31], v[34:35]
	v_add_co_ci_u32_e32 v57, vcc_lo, 0, v101, vcc_lo
	v_add_co_u32 v76, vcc_lo, 0x2800, v100
	v_add_f64 v[14:15], v[24:25], v[32:33]
	v_add_f64 v[18:19], v[44:45], -v[22:23]
	v_add_f64 v[22:23], v[22:23], v[44:45]
	v_add_f64 v[26:27], v[32:33], -v[24:25]
	v_add_f64 v[10:11], v[68:69], v[54:55]
	v_add_f64 v[30:31], v[40:41], v[50:51]
	;; [unrolled: 1-line block ×3, first 2 shown]
	v_add_f64 v[46:47], v[46:47], -v[48:49]
	v_add_f64 v[50:51], v[50:51], -v[40:41]
	v_add_f64 v[48:49], v[60:61], v[62:63]
	v_add_f64 v[44:45], v[64:65], v[66:67]
	v_add_f64 v[38:39], v[16:17], -v[42:43]
	v_add_f64 v[42:43], v[42:43], v[16:17]
	v_add_f64 v[40:41], v[20:21], -v[36:37]
	;; [unrolled: 2-line block ×3, first 2 shown]
	v_add_f64 v[28:29], v[62:63], -v[60:61]
	v_add_f64 v[54:55], v[54:55], -v[68:69]
	v_add_f64 v[52:53], v[74:75], v[70:71]
	v_add_f64 v[24:25], v[8:9], v[58:59]
	v_add_f64 v[20:21], v[72:73], -v[12:13]
	v_add_f64 v[16:17], v[12:13], v[72:73]
	v_add_f64 v[12:13], v[58:59], -v[8:9]
	v_add_f64 v[8:9], v[70:71], -v[74:75]
	v_add_co_ci_u32_e32 v77, vcc_lo, 0, v101, vcc_lo
	v_add_co_u32 v58, vcc_lo, 0x3000, v100
	v_add_co_ci_u32_e32 v59, vcc_lo, 0, v101, vcc_lo
	v_add_co_u32 v60, vcc_lo, 0x3800, v100
	v_add_co_ci_u32_e32 v61, vcc_lo, 0, v101, vcc_lo
	global_store_dwordx4 v[102:103], v[4:7], off
	global_store_dwordx4 v[108:109], v[48:51], off offset:416
	global_store_dwordx4 v[110:111], v[44:47], off offset:832
	;; [unrolled: 1-line block ×13, first 2 shown]
.LBB0_20:
	s_endpgm
	.section	.rodata,"a",@progbits
	.p2align	6, 0x0
	.amdhsa_kernel fft_rtc_back_len1078_factors_2_11_7_7_wgs_231_tpt_77_halfLds_dp_ip_CI_unitstride_sbrr_dirReg
		.amdhsa_group_segment_fixed_size 0
		.amdhsa_private_segment_fixed_size 0
		.amdhsa_kernarg_size 88
		.amdhsa_user_sgpr_count 6
		.amdhsa_user_sgpr_private_segment_buffer 1
		.amdhsa_user_sgpr_dispatch_ptr 0
		.amdhsa_user_sgpr_queue_ptr 0
		.amdhsa_user_sgpr_kernarg_segment_ptr 1
		.amdhsa_user_sgpr_dispatch_id 0
		.amdhsa_user_sgpr_flat_scratch_init 0
		.amdhsa_user_sgpr_private_segment_size 0
		.amdhsa_wavefront_size32 1
		.amdhsa_uses_dynamic_stack 0
		.amdhsa_system_sgpr_private_segment_wavefront_offset 0
		.amdhsa_system_sgpr_workgroup_id_x 1
		.amdhsa_system_sgpr_workgroup_id_y 0
		.amdhsa_system_sgpr_workgroup_id_z 0
		.amdhsa_system_sgpr_workgroup_info 0
		.amdhsa_system_vgpr_workitem_id 0
		.amdhsa_next_free_vgpr 201
		.amdhsa_next_free_sgpr 38
		.amdhsa_reserve_vcc 1
		.amdhsa_reserve_flat_scratch 0
		.amdhsa_float_round_mode_32 0
		.amdhsa_float_round_mode_16_64 0
		.amdhsa_float_denorm_mode_32 3
		.amdhsa_float_denorm_mode_16_64 3
		.amdhsa_dx10_clamp 1
		.amdhsa_ieee_mode 1
		.amdhsa_fp16_overflow 0
		.amdhsa_workgroup_processor_mode 1
		.amdhsa_memory_ordered 1
		.amdhsa_forward_progress 0
		.amdhsa_shared_vgpr_count 0
		.amdhsa_exception_fp_ieee_invalid_op 0
		.amdhsa_exception_fp_denorm_src 0
		.amdhsa_exception_fp_ieee_div_zero 0
		.amdhsa_exception_fp_ieee_overflow 0
		.amdhsa_exception_fp_ieee_underflow 0
		.amdhsa_exception_fp_ieee_inexact 0
		.amdhsa_exception_int_div_zero 0
	.end_amdhsa_kernel
	.text
.Lfunc_end0:
	.size	fft_rtc_back_len1078_factors_2_11_7_7_wgs_231_tpt_77_halfLds_dp_ip_CI_unitstride_sbrr_dirReg, .Lfunc_end0-fft_rtc_back_len1078_factors_2_11_7_7_wgs_231_tpt_77_halfLds_dp_ip_CI_unitstride_sbrr_dirReg
                                        ; -- End function
	.section	.AMDGPU.csdata,"",@progbits
; Kernel info:
; codeLenInByte = 13672
; NumSgprs: 40
; NumVgprs: 201
; ScratchSize: 0
; MemoryBound: 1
; FloatMode: 240
; IeeeMode: 1
; LDSByteSize: 0 bytes/workgroup (compile time only)
; SGPRBlocks: 4
; VGPRBlocks: 25
; NumSGPRsForWavesPerEU: 40
; NumVGPRsForWavesPerEU: 201
; Occupancy: 4
; WaveLimiterHint : 1
; COMPUTE_PGM_RSRC2:SCRATCH_EN: 0
; COMPUTE_PGM_RSRC2:USER_SGPR: 6
; COMPUTE_PGM_RSRC2:TRAP_HANDLER: 0
; COMPUTE_PGM_RSRC2:TGID_X_EN: 1
; COMPUTE_PGM_RSRC2:TGID_Y_EN: 0
; COMPUTE_PGM_RSRC2:TGID_Z_EN: 0
; COMPUTE_PGM_RSRC2:TIDIG_COMP_CNT: 0
	.text
	.p2alignl 6, 3214868480
	.fill 48, 4, 3214868480
	.type	__hip_cuid_1d36078cbb7947c3,@object ; @__hip_cuid_1d36078cbb7947c3
	.section	.bss,"aw",@nobits
	.globl	__hip_cuid_1d36078cbb7947c3
__hip_cuid_1d36078cbb7947c3:
	.byte	0                               ; 0x0
	.size	__hip_cuid_1d36078cbb7947c3, 1

	.ident	"AMD clang version 19.0.0git (https://github.com/RadeonOpenCompute/llvm-project roc-6.4.0 25133 c7fe45cf4b819c5991fe208aaa96edf142730f1d)"
	.section	".note.GNU-stack","",@progbits
	.addrsig
	.addrsig_sym __hip_cuid_1d36078cbb7947c3
	.amdgpu_metadata
---
amdhsa.kernels:
  - .args:
      - .actual_access:  read_only
        .address_space:  global
        .offset:         0
        .size:           8
        .value_kind:     global_buffer
      - .offset:         8
        .size:           8
        .value_kind:     by_value
      - .actual_access:  read_only
        .address_space:  global
        .offset:         16
        .size:           8
        .value_kind:     global_buffer
      - .actual_access:  read_only
        .address_space:  global
        .offset:         24
        .size:           8
        .value_kind:     global_buffer
      - .offset:         32
        .size:           8
        .value_kind:     by_value
      - .actual_access:  read_only
        .address_space:  global
        .offset:         40
        .size:           8
        .value_kind:     global_buffer
      - .actual_access:  read_only
        .address_space:  global
        .offset:         48
        .size:           8
        .value_kind:     global_buffer
      - .offset:         56
        .size:           4
        .value_kind:     by_value
      - .actual_access:  read_only
        .address_space:  global
        .offset:         64
        .size:           8
        .value_kind:     global_buffer
      - .actual_access:  read_only
        .address_space:  global
        .offset:         72
        .size:           8
        .value_kind:     global_buffer
      - .address_space:  global
        .offset:         80
        .size:           8
        .value_kind:     global_buffer
    .group_segment_fixed_size: 0
    .kernarg_segment_align: 8
    .kernarg_segment_size: 88
    .language:       OpenCL C
    .language_version:
      - 2
      - 0
    .max_flat_workgroup_size: 231
    .name:           fft_rtc_back_len1078_factors_2_11_7_7_wgs_231_tpt_77_halfLds_dp_ip_CI_unitstride_sbrr_dirReg
    .private_segment_fixed_size: 0
    .sgpr_count:     40
    .sgpr_spill_count: 0
    .symbol:         fft_rtc_back_len1078_factors_2_11_7_7_wgs_231_tpt_77_halfLds_dp_ip_CI_unitstride_sbrr_dirReg.kd
    .uniform_work_group_size: 1
    .uses_dynamic_stack: false
    .vgpr_count:     201
    .vgpr_spill_count: 0
    .wavefront_size: 32
    .workgroup_processor_mode: 1
amdhsa.target:   amdgcn-amd-amdhsa--gfx1030
amdhsa.version:
  - 1
  - 2
...

	.end_amdgpu_metadata
